;; amdgpu-corpus repo=ROCm/rocFFT kind=compiled arch=gfx906 opt=O3
	.text
	.amdgcn_target "amdgcn-amd-amdhsa--gfx906"
	.amdhsa_code_object_version 6
	.protected	fft_rtc_back_len960_factors_16_10_6_wgs_160_tpt_160_half_ip_CI_unitstride_sbrr_dirReg ; -- Begin function fft_rtc_back_len960_factors_16_10_6_wgs_160_tpt_160_half_ip_CI_unitstride_sbrr_dirReg
	.globl	fft_rtc_back_len960_factors_16_10_6_wgs_160_tpt_160_half_ip_CI_unitstride_sbrr_dirReg
	.p2align	8
	.type	fft_rtc_back_len960_factors_16_10_6_wgs_160_tpt_160_half_ip_CI_unitstride_sbrr_dirReg,@function
fft_rtc_back_len960_factors_16_10_6_wgs_160_tpt_160_half_ip_CI_unitstride_sbrr_dirReg: ; @fft_rtc_back_len960_factors_16_10_6_wgs_160_tpt_160_half_ip_CI_unitstride_sbrr_dirReg
; %bb.0:
	s_load_dwordx2 s[2:3], s[4:5], 0x50
	s_load_dwordx4 s[8:11], s[4:5], 0x0
	s_load_dwordx2 s[12:13], s[4:5], 0x18
	v_mul_u32_u24_e32 v1, 0x19a, v0
	v_add_u32_sdwa v5, s6, v1 dst_sel:DWORD dst_unused:UNUSED_PAD src0_sel:DWORD src1_sel:WORD_1
	v_mov_b32_e32 v3, 0
	s_waitcnt lgkmcnt(0)
	v_cmp_lt_u64_e64 s[0:1], s[10:11], 2
	v_mov_b32_e32 v1, 0
	v_mov_b32_e32 v6, v3
	s_and_b64 vcc, exec, s[0:1]
	v_mov_b32_e32 v2, 0
	s_cbranch_vccnz .LBB0_8
; %bb.1:
	s_load_dwordx2 s[0:1], s[4:5], 0x10
	s_add_u32 s6, s12, 8
	s_addc_u32 s7, s13, 0
	v_mov_b32_e32 v1, 0
	v_mov_b32_e32 v2, 0
	s_waitcnt lgkmcnt(0)
	s_add_u32 s14, s0, 8
	s_addc_u32 s15, s1, 0
	s_mov_b64 s[16:17], 1
.LBB0_2:                                ; =>This Inner Loop Header: Depth=1
	s_load_dwordx2 s[18:19], s[14:15], 0x0
                                        ; implicit-def: $vgpr7_vgpr8
	s_waitcnt lgkmcnt(0)
	v_or_b32_e32 v4, s19, v6
	v_cmp_ne_u64_e32 vcc, 0, v[3:4]
	s_and_saveexec_b64 s[0:1], vcc
	s_xor_b64 s[20:21], exec, s[0:1]
	s_cbranch_execz .LBB0_4
; %bb.3:                                ;   in Loop: Header=BB0_2 Depth=1
	v_cvt_f32_u32_e32 v4, s18
	v_cvt_f32_u32_e32 v7, s19
	s_sub_u32 s0, 0, s18
	s_subb_u32 s1, 0, s19
	v_mac_f32_e32 v4, 0x4f800000, v7
	v_rcp_f32_e32 v4, v4
	v_mul_f32_e32 v4, 0x5f7ffffc, v4
	v_mul_f32_e32 v7, 0x2f800000, v4
	v_trunc_f32_e32 v7, v7
	v_mac_f32_e32 v4, 0xcf800000, v7
	v_cvt_u32_f32_e32 v7, v7
	v_cvt_u32_f32_e32 v4, v4
	v_mul_lo_u32 v8, s0, v7
	v_mul_hi_u32 v9, s0, v4
	v_mul_lo_u32 v11, s1, v4
	v_mul_lo_u32 v10, s0, v4
	v_add_u32_e32 v8, v9, v8
	v_add_u32_e32 v8, v8, v11
	v_mul_hi_u32 v9, v4, v10
	v_mul_lo_u32 v11, v4, v8
	v_mul_hi_u32 v13, v4, v8
	v_mul_hi_u32 v12, v7, v10
	v_mul_lo_u32 v10, v7, v10
	v_mul_hi_u32 v14, v7, v8
	v_add_co_u32_e32 v9, vcc, v9, v11
	v_addc_co_u32_e32 v11, vcc, 0, v13, vcc
	v_mul_lo_u32 v8, v7, v8
	v_add_co_u32_e32 v9, vcc, v9, v10
	v_addc_co_u32_e32 v9, vcc, v11, v12, vcc
	v_addc_co_u32_e32 v10, vcc, 0, v14, vcc
	v_add_co_u32_e32 v8, vcc, v9, v8
	v_addc_co_u32_e32 v9, vcc, 0, v10, vcc
	v_add_co_u32_e32 v4, vcc, v4, v8
	v_addc_co_u32_e32 v7, vcc, v7, v9, vcc
	v_mul_lo_u32 v8, s0, v7
	v_mul_hi_u32 v9, s0, v4
	v_mul_lo_u32 v10, s1, v4
	v_mul_lo_u32 v11, s0, v4
	v_add_u32_e32 v8, v9, v8
	v_add_u32_e32 v8, v8, v10
	v_mul_lo_u32 v12, v4, v8
	v_mul_hi_u32 v13, v4, v11
	v_mul_hi_u32 v14, v4, v8
	;; [unrolled: 1-line block ×3, first 2 shown]
	v_mul_lo_u32 v11, v7, v11
	v_mul_hi_u32 v9, v7, v8
	v_add_co_u32_e32 v12, vcc, v13, v12
	v_addc_co_u32_e32 v13, vcc, 0, v14, vcc
	v_mul_lo_u32 v8, v7, v8
	v_add_co_u32_e32 v11, vcc, v12, v11
	v_addc_co_u32_e32 v10, vcc, v13, v10, vcc
	v_addc_co_u32_e32 v9, vcc, 0, v9, vcc
	v_add_co_u32_e32 v8, vcc, v10, v8
	v_addc_co_u32_e32 v9, vcc, 0, v9, vcc
	v_add_co_u32_e32 v4, vcc, v4, v8
	v_addc_co_u32_e32 v9, vcc, v7, v9, vcc
	v_mad_u64_u32 v[7:8], s[0:1], v5, v9, 0
	v_mul_hi_u32 v10, v5, v4
	v_add_co_u32_e32 v11, vcc, v10, v7
	v_addc_co_u32_e32 v12, vcc, 0, v8, vcc
	v_mad_u64_u32 v[7:8], s[0:1], v6, v4, 0
	v_mad_u64_u32 v[9:10], s[0:1], v6, v9, 0
	v_add_co_u32_e32 v4, vcc, v11, v7
	v_addc_co_u32_e32 v4, vcc, v12, v8, vcc
	v_addc_co_u32_e32 v7, vcc, 0, v10, vcc
	v_add_co_u32_e32 v4, vcc, v4, v9
	v_addc_co_u32_e32 v9, vcc, 0, v7, vcc
	v_mul_lo_u32 v10, s19, v4
	v_mul_lo_u32 v11, s18, v9
	v_mad_u64_u32 v[7:8], s[0:1], s18, v4, 0
	v_add3_u32 v8, v8, v11, v10
	v_sub_u32_e32 v10, v6, v8
	v_mov_b32_e32 v11, s19
	v_sub_co_u32_e32 v7, vcc, v5, v7
	v_subb_co_u32_e64 v10, s[0:1], v10, v11, vcc
	v_subrev_co_u32_e64 v11, s[0:1], s18, v7
	v_subbrev_co_u32_e64 v10, s[0:1], 0, v10, s[0:1]
	v_cmp_le_u32_e64 s[0:1], s19, v10
	v_cndmask_b32_e64 v12, 0, -1, s[0:1]
	v_cmp_le_u32_e64 s[0:1], s18, v11
	v_cndmask_b32_e64 v11, 0, -1, s[0:1]
	v_cmp_eq_u32_e64 s[0:1], s19, v10
	v_cndmask_b32_e64 v10, v12, v11, s[0:1]
	v_add_co_u32_e64 v11, s[0:1], 2, v4
	v_addc_co_u32_e64 v12, s[0:1], 0, v9, s[0:1]
	v_add_co_u32_e64 v13, s[0:1], 1, v4
	v_addc_co_u32_e64 v14, s[0:1], 0, v9, s[0:1]
	v_subb_co_u32_e32 v8, vcc, v6, v8, vcc
	v_cmp_ne_u32_e64 s[0:1], 0, v10
	v_cmp_le_u32_e32 vcc, s19, v8
	v_cndmask_b32_e64 v10, v14, v12, s[0:1]
	v_cndmask_b32_e64 v12, 0, -1, vcc
	v_cmp_le_u32_e32 vcc, s18, v7
	v_cndmask_b32_e64 v7, 0, -1, vcc
	v_cmp_eq_u32_e32 vcc, s19, v8
	v_cndmask_b32_e32 v7, v12, v7, vcc
	v_cmp_ne_u32_e32 vcc, 0, v7
	v_cndmask_b32_e64 v7, v13, v11, s[0:1]
	v_cndmask_b32_e32 v8, v9, v10, vcc
	v_cndmask_b32_e32 v7, v4, v7, vcc
.LBB0_4:                                ;   in Loop: Header=BB0_2 Depth=1
	s_andn2_saveexec_b64 s[0:1], s[20:21]
	s_cbranch_execz .LBB0_6
; %bb.5:                                ;   in Loop: Header=BB0_2 Depth=1
	v_cvt_f32_u32_e32 v4, s18
	s_sub_i32 s20, 0, s18
	v_rcp_iflag_f32_e32 v4, v4
	v_mul_f32_e32 v4, 0x4f7ffffe, v4
	v_cvt_u32_f32_e32 v4, v4
	v_mul_lo_u32 v7, s20, v4
	v_mul_hi_u32 v7, v4, v7
	v_add_u32_e32 v4, v4, v7
	v_mul_hi_u32 v4, v5, v4
	v_mul_lo_u32 v7, v4, s18
	v_add_u32_e32 v8, 1, v4
	v_sub_u32_e32 v7, v5, v7
	v_subrev_u32_e32 v9, s18, v7
	v_cmp_le_u32_e32 vcc, s18, v7
	v_cndmask_b32_e32 v7, v7, v9, vcc
	v_cndmask_b32_e32 v4, v4, v8, vcc
	v_add_u32_e32 v8, 1, v4
	v_cmp_le_u32_e32 vcc, s18, v7
	v_cndmask_b32_e32 v7, v4, v8, vcc
	v_mov_b32_e32 v8, v3
.LBB0_6:                                ;   in Loop: Header=BB0_2 Depth=1
	s_or_b64 exec, exec, s[0:1]
	v_mul_lo_u32 v4, v8, s18
	v_mul_lo_u32 v11, v7, s19
	v_mad_u64_u32 v[9:10], s[0:1], v7, s18, 0
	s_load_dwordx2 s[0:1], s[6:7], 0x0
	s_add_u32 s16, s16, 1
	v_add3_u32 v4, v10, v11, v4
	v_sub_co_u32_e32 v5, vcc, v5, v9
	v_subb_co_u32_e32 v4, vcc, v6, v4, vcc
	s_waitcnt lgkmcnt(0)
	v_mul_lo_u32 v4, s0, v4
	v_mul_lo_u32 v6, s1, v5
	v_mad_u64_u32 v[1:2], s[0:1], s0, v5, v[1:2]
	s_addc_u32 s17, s17, 0
	s_add_u32 s6, s6, 8
	v_add3_u32 v2, v6, v2, v4
	v_mov_b32_e32 v4, s10
	v_mov_b32_e32 v5, s11
	s_addc_u32 s7, s7, 0
	v_cmp_ge_u64_e32 vcc, s[16:17], v[4:5]
	s_add_u32 s14, s14, 8
	s_addc_u32 s15, s15, 0
	s_cbranch_vccnz .LBB0_9
; %bb.7:                                ;   in Loop: Header=BB0_2 Depth=1
	v_mov_b32_e32 v5, v7
	v_mov_b32_e32 v6, v8
	s_branch .LBB0_2
.LBB0_8:
	v_mov_b32_e32 v8, v6
	v_mov_b32_e32 v7, v5
.LBB0_9:
	s_lshl_b64 s[0:1], s[10:11], 3
	s_add_u32 s0, s12, s0
	s_addc_u32 s1, s13, s1
	s_load_dwordx2 s[6:7], s[0:1], 0x0
	s_load_dwordx2 s[10:11], s[4:5], 0x20
	s_waitcnt lgkmcnt(0)
	v_mad_u64_u32 v[1:2], s[0:1], s6, v7, v[1:2]
	s_mov_b32 s0, 0x199999a
	v_mul_lo_u32 v3, s6, v8
	v_mul_lo_u32 v4, s7, v7
	v_mul_hi_u32 v5, v0, s0
	v_cmp_gt_u64_e32 vcc, s[10:11], v[7:8]
	v_add3_u32 v2, v4, v2, v3
	v_mul_u32_u24_e32 v3, 0xa0, v5
	v_sub_u32_e32 v0, v0, v3
	v_lshlrev_b64 v[2:3], 2, v[1:2]
	v_lshl_add_u32 v14, v0, 2, 0
	s_and_saveexec_b64 s[4:5], vcc
	s_cbranch_execz .LBB0_11
; %bb.10:
	v_mov_b32_e32 v1, 0
	v_mov_b32_e32 v4, s3
	v_add_co_u32_e64 v6, s[0:1], s2, v2
	v_addc_co_u32_e64 v7, s[0:1], v4, v3, s[0:1]
	v_lshlrev_b64 v[4:5], 2, v[0:1]
	v_add_co_u32_e64 v4, s[0:1], v6, v4
	v_addc_co_u32_e64 v5, s[0:1], v7, v5, s[0:1]
	global_load_dword v1, v[4:5], off
	global_load_dword v6, v[4:5], off offset:640
	global_load_dword v7, v[4:5], off offset:1280
	;; [unrolled: 1-line block ×5, first 2 shown]
	v_add_u32_e32 v4, 0x400, v14
	v_add_u32_e32 v5, 0xa00, v14
	s_waitcnt vmcnt(4)
	ds_write2_b32 v14, v1, v6 offset1:160
	s_waitcnt vmcnt(2)
	ds_write2_b32 v4, v7, v8 offset0:64 offset1:224
	s_waitcnt vmcnt(0)
	ds_write2_b32 v5, v9, v10 offset1:160
.LBB0_11:
	s_or_b64 exec, exec, s[4:5]
	v_add_u32_e32 v1, 0x200, v14
	s_waitcnt lgkmcnt(0)
	s_barrier
	ds_read2_b32 v[4:5], v14 offset1:60
	ds_read2_b32 v[6:7], v14 offset0:120 offset1:180
	ds_read2_b32 v[8:9], v1 offset0:112 offset1:172
	v_add_u32_e32 v1, 0x400, v14
	ds_read2_b32 v[10:11], v1 offset0:104 offset1:164
	v_add_u32_e32 v1, 0x600, v14
	;; [unrolled: 2-line block ×5, first 2 shown]
	ds_read2_b32 v[19:20], v1 offset0:72 offset1:132
	s_waitcnt lgkmcnt(3)
	v_pk_add_f16 v1, v4, v12 neg_lo:[0,1] neg_hi:[0,1]
	v_pk_add_f16 v12, v5, v13 neg_lo:[0,1] neg_hi:[0,1]
	s_waitcnt lgkmcnt(1)
	v_pk_add_f16 v13, v8, v17 neg_lo:[0,1] neg_hi:[0,1]
	v_pk_add_f16 v17, v9, v18 neg_lo:[0,1] neg_hi:[0,1]
	;; [unrolled: 1-line block ×3, first 2 shown]
	s_waitcnt lgkmcnt(0)
	v_pk_add_f16 v18, v10, v19 neg_lo:[0,1] neg_hi:[0,1]
	v_pk_add_f16 v19, v11, v20 neg_lo:[0,1] neg_hi:[0,1]
	v_add_f16_sdwa v20, v1, v13 dst_sel:DWORD dst_unused:UNUSED_PAD src0_sel:DWORD src1_sel:WORD_1
	v_lshrrev_b32_e32 v21, 16, v1
	v_add_f16_sdwa v22, v15, v18 dst_sel:DWORD dst_unused:UNUSED_PAD src0_sel:DWORD src1_sel:WORD_1
	v_lshrrev_b32_e32 v23, 16, v15
	v_pk_fma_f16 v4, v4, 2.0, v1 op_sel_hi:[1,0,1] neg_lo:[0,0,1] neg_hi:[0,0,1]
	v_pk_fma_f16 v8, v8, 2.0, v13 op_sel_hi:[1,0,1] neg_lo:[0,0,1] neg_hi:[0,0,1]
	;; [unrolled: 1-line block ×4, first 2 shown]
	v_sub_f16_e32 v13, v21, v13
	v_fma_f16 v1, v1, 2.0, -v20
	v_sub_f16_e32 v18, v23, v18
	v_fma_f16 v15, v15, 2.0, -v22
	s_mov_b32 s0, 0xb9a8
	v_fma_f16 v21, v21, 2.0, -v13
	v_fma_f16 v23, v23, 2.0, -v18
	s_movk_i32 s1, 0x39a8
	v_fma_f16 v24, v15, s0, v1
	v_fma_f16 v33, v23, s1, v24
	;; [unrolled: 1-line block ×5, first 2 shown]
	v_pk_add_f16 v16, v7, v16 neg_lo:[0,1] neg_hi:[0,1]
	v_fma_f16 v15, v18, s1, v15
	v_fma_f16 v18, v18, s1, v13
	;; [unrolled: 1-line block ×3, first 2 shown]
	v_add_f16_sdwa v18, v12, v17 dst_sel:DWORD dst_unused:UNUSED_PAD src0_sel:DWORD src1_sel:WORD_1
	v_lshrrev_b32_e32 v22, 16, v12
	v_add_f16_sdwa v23, v16, v19 dst_sel:DWORD dst_unused:UNUSED_PAD src0_sel:DWORD src1_sel:WORD_1
	v_lshrrev_b32_e32 v24, 16, v16
	v_pk_fma_f16 v5, v5, 2.0, v12 op_sel_hi:[1,0,1] neg_lo:[0,0,1] neg_hi:[0,0,1]
	v_pk_fma_f16 v9, v9, 2.0, v17 op_sel_hi:[1,0,1] neg_lo:[0,0,1] neg_hi:[0,0,1]
	;; [unrolled: 1-line block ×4, first 2 shown]
	v_sub_f16_e32 v17, v22, v17
	v_fma_f16 v12, v12, 2.0, -v18
	v_sub_f16_e32 v19, v24, v19
	v_fma_f16 v16, v16, 2.0, -v23
	v_fma_f16 v22, v22, 2.0, -v17
	;; [unrolled: 1-line block ×3, first 2 shown]
	v_fma_f16 v25, v16, s0, v12
	v_pk_add_f16 v8, v4, v8 neg_lo:[0,1] neg_hi:[0,1]
	v_pk_add_f16 v10, v6, v10 neg_lo:[0,1] neg_hi:[0,1]
	;; [unrolled: 1-line block ×4, first 2 shown]
	v_fma_f16 v27, v24, s1, v25
	v_fma_f16 v24, v24, s0, v22
	v_pk_fma_f16 v4, v4, 2.0, v8 op_sel_hi:[1,0,1] neg_lo:[0,0,1] neg_hi:[0,0,1]
	v_pk_fma_f16 v6, v6, 2.0, v10 op_sel_hi:[1,0,1] neg_lo:[0,0,1] neg_hi:[0,0,1]
	;; [unrolled: 1-line block ×4, first 2 shown]
	v_fma_f16 v28, v16, s0, v24
	v_fma_f16 v16, v23, s1, v18
	v_pk_add_f16 v36, v4, v6 neg_lo:[0,1] neg_hi:[0,1]
	v_pk_add_f16 v37, v5, v7 neg_lo:[0,1] neg_hi:[0,1]
	v_fma_f16 v31, v19, s1, v16
	v_fma_f16 v16, v19, s1, v17
	v_pk_fma_f16 v4, v4, 2.0, v36 op_sel_hi:[1,0,1] neg_lo:[0,0,1] neg_hi:[0,0,1]
	v_fma_f16 v1, v1, 2.0, -v33
	v_pk_fma_f16 v5, v5, 2.0, v37 op_sel_hi:[1,0,1] neg_lo:[0,0,1] neg_hi:[0,0,1]
	v_fma_f16 v12, v12, 2.0, -v27
	s_mov_b32 s4, 0xbb64
	v_fma_f16 v19, v23, s0, v16
	v_fma_f16 v16, v22, 2.0, -v28
	s_movk_i32 s5, 0x361f
	v_pk_add_f16 v6, v4, v5 neg_lo:[0,1] neg_hi:[0,1]
	v_fma_f16 v5, v12, s4, v1
	v_fma_f16 v21, v21, 2.0, -v34
	v_fma_f16 v7, v16, s5, v5
	v_fma_f16 v5, v16, s4, v21
	s_mov_b32 s6, 0xb61f
	v_fma_f16 v16, v12, s6, v5
	v_fma_f16 v5, v1, 2.0, -v7
	v_lshrrev_b32_e32 v1, 16, v8
	v_sub_f16_e32 v22, v1, v10
	v_add_f16_sdwa v12, v8, v10 dst_sel:DWORD dst_unused:UNUSED_PAD src0_sel:DWORD src1_sel:WORD_1
	v_fma_f16 v32, v1, 2.0, -v22
	v_add_f16_sdwa v10, v9, v11 dst_sel:DWORD dst_unused:UNUSED_PAD src0_sel:DWORD src1_sel:WORD_1
	v_lshrrev_b32_e32 v1, 16, v9
	v_fma_f16 v8, v8, 2.0, -v12
	v_sub_f16_e32 v11, v1, v11
	v_fma_f16 v9, v9, 2.0, -v10
	v_fma_f16 v23, v1, 2.0, -v11
	v_fma_f16 v1, v9, s0, v8
	v_fma_f16 v1, v23, s1, v1
	;; [unrolled: 1-line block ×4, first 2 shown]
	v_fma_f16 v9, v20, 2.0, -v15
	v_fma_f16 v18, v18, 2.0, -v31
	;; [unrolled: 1-line block ×4, first 2 shown]
	s_movk_i32 s7, 0x3b64
	v_fma_f16 v20, v18, s6, v9
	v_fma_f16 v24, v17, s7, v20
	;; [unrolled: 1-line block ×15, first 2 shown]
	v_lshrrev_b32_e32 v19, 16, v36
	v_fma_f16 v31, v31, s6, v10
	v_fma_f16 v18, v32, 2.0, -v23
	v_fma_f16 v17, v13, 2.0, -v25
	v_add_f16_sdwa v32, v36, v37 dst_sel:DWORD dst_unused:UNUSED_PAD src0_sel:DWORD src1_sel:WORD_1
	v_fma_f16 v13, v33, 2.0, -v26
	v_sub_f16_e32 v33, v19, v37
	v_pk_fma_f16 v4, v4, 2.0, v6 op_sel_hi:[1,0,1] neg_lo:[0,0,1] neg_hi:[0,0,1]
	v_fma_f16 v8, v8, 2.0, -v1
	v_fma_f16 v9, v9, 2.0, -v24
	;; [unrolled: 1-line block ×10, first 2 shown]
	v_cmp_gt_u32_e64 s[0:1], 60, v0
	s_barrier
	s_and_saveexec_b64 s[4:5], s[0:1]
	s_cbranch_execz .LBB0_13
; %bb.12:
	s_mov_b32 s0, 0x5040100
	v_mad_u32_u24 v34, v0, 60, v14
	v_perm_b32 v35, v17, v9, s0
	v_perm_b32 v36, v18, v8, s0
	ds_write2_b32 v34, v36, v35 offset0:2 offset1:3
	v_perm_b32 v35, v20, v13, s0
	v_perm_b32 v36, v21, v12, s0
	ds_write2_b32 v34, v36, v35 offset0:4 offset1:5
	v_perm_b32 v35, v19, v11, s0
	v_perm_b32 v36, v22, v10, s0
	;; [unrolled: 1-line block ×4, first 2 shown]
	ds_write2_b32 v34, v36, v35 offset0:6 offset1:7
	v_perm_b32 v35, v15, v5, s0
	ds_write2_b32 v34, v1, v24 offset0:10 offset1:11
	v_perm_b32 v1, v27, v26, s0
	v_perm_b32 v23, v33, v32, s0
	ds_write2_b32 v34, v4, v35 offset1:1
	v_perm_b32 v35, v16, v7, s0
	ds_write2_b32 v34, v23, v1 offset0:12 offset1:13
	v_perm_b32 v1, v31, v30, s0
	v_perm_b32 v23, v29, v28, s0
	ds_write2_b32 v34, v6, v35 offset0:8 offset1:9
	ds_write2_b32 v34, v23, v1 offset0:14 offset1:15
.LBB0_13:
	s_or_b64 exec, exec, s[4:5]
	s_movk_i32 s0, 0x60
	v_cmp_gt_u32_e64 s[0:1], s0, v0
	s_waitcnt lgkmcnt(0)
	s_barrier
	s_and_saveexec_b64 s[4:5], s[0:1]
	s_cbranch_execz .LBB0_15
; %bb.14:
	v_add_u32_e32 v1, 0x200, v14
	ds_read2_b32 v[8:9], v1 offset0:64 offset1:160
	v_add_u32_e32 v1, 0xc00, v14
	ds_read2_b32 v[6:7], v1 offset1:96
	v_add_u32_e32 v1, 0x400, v14
	ds_read2_b32 v[12:13], v1 offset0:128 offset1:224
	v_add_u32_e32 v1, 0x800, v14
	ds_read2_b32 v[4:5], v14 offset1:96
	ds_read2_b32 v[10:11], v1 offset0:64 offset1:160
	s_waitcnt lgkmcnt(3)
	v_lshrrev_b32_e32 v16, 16, v7
	v_lshrrev_b32_e32 v18, 16, v8
	;; [unrolled: 1-line block ×3, first 2 shown]
	s_waitcnt lgkmcnt(1)
	v_lshrrev_b32_e32 v15, 16, v5
	v_lshrrev_b32_e32 v21, 16, v12
	;; [unrolled: 1-line block ×3, first 2 shown]
	s_waitcnt lgkmcnt(0)
	v_lshrrev_b32_e32 v22, 16, v10
	v_lshrrev_b32_e32 v19, 16, v11
.LBB0_15:
	s_or_b64 exec, exec, s[4:5]
	s_barrier
	s_and_saveexec_b64 s[4:5], s[0:1]
	s_cbranch_execz .LBB0_17
; %bb.16:
	v_and_b32_e32 v1, 15, v0
	v_mul_u32_u24_e32 v23, 9, v1
	v_lshlrev_b32_e32 v31, 2, v23
	global_load_dwordx4 v[23:26], v31, s[8:9]
	global_load_dwordx4 v[27:30], v31, s[8:9] offset:16
	global_load_dword v32, v31, s[8:9] offset:32
	v_lshrrev_b32_e32 v31, 16, v6
	v_lshrrev_b32_e32 v33, 16, v4
	s_mov_b32 s7, 0xbb9c
	s_movk_i32 s10, 0x3b9c
	s_mov_b32 s1, 0xb8b4
	s_movk_i32 s6, 0x38b4
	s_movk_i32 s0, 0x34f2
	s_mov_b32 s11, 0xba79
	s_mov_b32 s12, 0xb4f2
	s_waitcnt vmcnt(2)
	v_mul_f16_sdwa v34, v8, v24 dst_sel:DWORD dst_unused:UNUSED_PAD src0_sel:DWORD src1_sel:WORD_1
	v_mul_f16_sdwa v35, v12, v26 dst_sel:DWORD dst_unused:UNUSED_PAD src0_sel:DWORD src1_sel:WORD_1
	s_waitcnt vmcnt(0)
	v_mul_f16_sdwa v38, v16, v32 dst_sel:DWORD dst_unused:UNUSED_PAD src0_sel:DWORD src1_sel:WORD_1
	v_mul_f16_sdwa v39, v7, v32 dst_sel:DWORD dst_unused:UNUSED_PAD src0_sel:DWORD src1_sel:WORD_1
	v_mul_f16_sdwa v36, v6, v30 dst_sel:DWORD dst_unused:UNUSED_PAD src0_sel:DWORD src1_sel:WORD_1
	v_mul_f16_sdwa v37, v31, v30 dst_sel:DWORD dst_unused:UNUSED_PAD src0_sel:DWORD src1_sel:WORD_1
	v_mul_f16_sdwa v40, v18, v24 dst_sel:DWORD dst_unused:UNUSED_PAD src0_sel:DWORD src1_sel:WORD_1
	v_mul_f16_sdwa v42, v17, v25 dst_sel:DWORD dst_unused:UNUSED_PAD src0_sel:DWORD src1_sel:WORD_1
	v_mul_f16_sdwa v43, v9, v25 dst_sel:DWORD dst_unused:UNUSED_PAD src0_sel:DWORD src1_sel:WORD_1
	v_mul_f16_sdwa v44, v20, v27 dst_sel:DWORD dst_unused:UNUSED_PAD src0_sel:DWORD src1_sel:WORD_1
	v_mul_f16_sdwa v45, v13, v27 dst_sel:DWORD dst_unused:UNUSED_PAD src0_sel:DWORD src1_sel:WORD_1
	v_fma_f16 v7, v7, v32, v38
	v_mul_f16_sdwa v38, v19, v29 dst_sel:DWORD dst_unused:UNUSED_PAD src0_sel:DWORD src1_sel:WORD_1
	v_fma_f16 v16, v16, v32, -v39
	v_mul_f16_sdwa v32, v10, v28 dst_sel:DWORD dst_unused:UNUSED_PAD src0_sel:DWORD src1_sel:WORD_1
	v_mul_f16_sdwa v39, v11, v29 dst_sel:DWORD dst_unused:UNUSED_PAD src0_sel:DWORD src1_sel:WORD_1
	;; [unrolled: 1-line block ×3, first 2 shown]
	v_fma_f16 v6, v6, v30, v37
	v_mul_f16_sdwa v37, v22, v28 dst_sel:DWORD dst_unused:UNUSED_PAD src0_sel:DWORD src1_sel:WORD_1
	v_fma_f16 v8, v8, v24, v40
	v_fma_f16 v9, v9, v25, v42
	v_mul_f16_sdwa v40, v15, v23 dst_sel:DWORD dst_unused:UNUSED_PAD src0_sel:DWORD src1_sel:WORD_1
	v_mul_f16_sdwa v42, v5, v23 dst_sel:DWORD dst_unused:UNUSED_PAD src0_sel:DWORD src1_sel:WORD_1
	v_fma_f16 v13, v13, v27, v44
	v_fma_f16 v11, v11, v29, v38
	v_fma_f16 v18, v18, v24, -v34
	v_fma_f16 v21, v21, v26, -v35
	;; [unrolled: 1-line block ×7, first 2 shown]
	v_fma_f16 v12, v12, v26, v41
	v_fma_f16 v10, v10, v28, v37
	;; [unrolled: 1-line block ×3, first 2 shown]
	v_fma_f16 v15, v15, v23, -v42
	v_sub_f16_e32 v23, v18, v21
	v_sub_f16_e32 v25, v24, v22
	v_sub_f16_e32 v28, v9, v13
	v_sub_f16_e32 v29, v7, v11
	v_sub_f16_e32 v31, v17, v20
	v_sub_f16_e32 v32, v16, v19
	v_sub_f16_e32 v34, v21, v18
	v_sub_f16_e32 v35, v22, v24
	v_add_f16_e32 v36, v18, v24
	v_add_f16_e32 v39, v9, v7
	v_sub_f16_e32 v27, v12, v10
	v_sub_f16_e32 v30, v20, v19
	;; [unrolled: 1-line block ×4, first 2 shown]
	v_add_f16_e32 v23, v23, v25
	v_add_f16_e32 v25, v28, v29
	;; [unrolled: 1-line block ×4, first 2 shown]
	v_fma_f16 v32, v36, -0.5, v33
	v_fma_f16 v34, v39, -0.5, v5
	v_sub_f16_e32 v26, v8, v6
	v_sub_f16_e32 v42, v17, v16
	v_add_f16_e32 v31, v37, v38
	v_fma_f16 v37, v27, s10, v32
	v_fma_f16 v32, v27, s7, v32
	v_fma_f16 v38, v30, s7, v34
	v_fma_f16 v34, v30, s10, v34
	v_add_f16_e32 v43, v17, v16
	v_fma_f16 v37, v26, s1, v37
	v_fma_f16 v32, v26, s6, v32
	;; [unrolled: 1-line block ×4, first 2 shown]
	v_fma_f16 v36, v43, -0.5, v15
	v_fma_f16 v37, v29, s0, v37
	v_fma_f16 v29, v29, s0, v32
	;; [unrolled: 1-line block ×4, first 2 shown]
	v_sub_f16_e32 v34, v13, v11
	v_sub_f16_e32 v40, v20, v17
	;; [unrolled: 1-line block ×4, first 2 shown]
	v_fma_f16 v38, v34, s10, v36
	v_fma_f16 v36, v34, s7, v36
	v_add_f16_e32 v35, v40, v41
	v_fma_f16 v38, v44, s1, v38
	v_fma_f16 v36, v44, s6, v36
	v_fma_f16 v38, v35, s0, v38
	v_fma_f16 v35, v35, s0, v36
	v_add_f16_e32 v36, v21, v22
	v_fma_f16 v36, v36, -0.5, v33
	v_fma_f16 v39, v26, s7, v36
	v_fma_f16 v26, v26, s10, v36
	v_fma_f16 v36, v27, s1, v39
	v_fma_f16 v26, v27, s6, v26
	v_fma_f16 v27, v23, s0, v36
	v_fma_f16 v23, v23, s0, v26
	v_add_f16_e32 v26, v13, v11
	v_fma_f16 v26, v26, -0.5, v5
	v_fma_f16 v36, v42, s10, v26
	v_fma_f16 v26, v42, s7, v26
	;; [unrolled: 8-line block ×3, first 2 shown]
	v_fma_f16 v36, v34, s1, v36
	v_fma_f16 v26, v34, s6, v26
	;; [unrolled: 1-line block ×4, first 2 shown]
	v_add_f16_e32 v15, v15, v17
	v_add_f16_e32 v28, v33, v18
	v_mul_f16_e32 v17, 0xba79, v34
	v_add_f16_e32 v15, v15, v20
	v_add_f16_e32 v28, v28, v21
	v_mul_f16_e32 v33, 0xb8b4, v34
	v_fma_f16 v17, v30, s6, v17
	v_add_f16_e32 v15, v15, v19
	v_add_f16_e32 v28, v28, v22
	v_sub_f16_e32 v21, v21, v22
	v_add_f16_e32 v22, v12, v10
	v_fma_f16 v30, v30, s11, v33
	v_add_f16_e32 v33, v8, v6
	v_add_f16_e32 v15, v15, v16
	v_sub_f16_e32 v16, v8, v12
	v_sub_f16_e32 v19, v6, v10
	v_fma_f16 v22, v22, -0.5, v4
	v_fma_f16 v33, v33, -0.5, v4
	v_add_f16_e32 v4, v4, v8
	v_add_f16_e32 v5, v5, v9
	;; [unrolled: 1-line block ×3, first 2 shown]
	v_mul_f16_e32 v19, 0xb4f2, v38
	v_sub_f16_e32 v8, v12, v8
	v_sub_f16_e32 v34, v10, v6
	v_mul_f16_e32 v36, 0xbb9c, v38
	v_add_f16_e32 v4, v4, v12
	v_add_f16_e32 v5, v5, v13
	v_fma_f16 v19, v32, s10, v19
	v_sub_f16_e32 v18, v18, v24
	v_add_f16_e32 v8, v8, v34
	v_mul_f16_e32 v34, 0x34f2, v35
	v_fma_f16 v32, v32, s12, v36
	v_fma_f16 v36, v21, s7, v33
	;; [unrolled: 1-line block ×3, first 2 shown]
	v_mul_f16_e32 v35, 0xbb9c, v35
	v_add_f16_e32 v4, v4, v10
	v_add_f16_e32 v5, v5, v11
	v_fma_f16 v34, v31, s10, v34
	v_fma_f16 v36, v18, s6, v36
	;; [unrolled: 1-line block ×6, first 2 shown]
	v_add_f16_e32 v4, v4, v6
	v_add_f16_e32 v5, v5, v7
	s_movk_i32 s11, 0x3a79
	v_mul_f16_e32 v22, 0x3a79, v26
	v_fma_f16 v35, v21, s6, v35
	v_fma_f16 v18, v21, s1, v18
	v_mul_f16_e32 v26, 0xb8b4, v26
	v_sub_f16_e32 v7, v4, v5
	v_add_f16_e32 v4, v4, v5
	v_lshrrev_b32_e32 v5, 4, v0
	v_add_f16_e32 v28, v28, v24
	v_fma_f16 v22, v25, s6, v22
	v_fma_f16 v35, v16, s0, v35
	;; [unrolled: 1-line block ×4, first 2 shown]
	v_mul_u32_u24_e32 v5, 0xa0, v5
	v_sub_f16_e32 v20, v27, v17
	v_fma_f16 v36, v8, s0, v36
	v_fma_f16 v8, v8, s0, v33
	v_sub_f16_e32 v18, v28, v15
	v_sub_f16_e32 v6, v16, v25
	v_add_f16_e32 v9, v27, v17
	v_add_f16_e32 v17, v23, v22
	;; [unrolled: 1-line block ×4, first 2 shown]
	v_or_b32_e32 v1, v5, v1
	v_sub_f16_e32 v21, v23, v22
	v_sub_f16_e32 v10, v8, v31
	v_add_f16_e32 v11, v37, v19
	v_add_f16_e32 v13, v29, v34
	;; [unrolled: 1-line block ×4, first 2 shown]
	v_lshl_add_u32 v1, v1, 2, 0
	v_pack_b32_f16 v4, v4, v15
	v_pack_b32_f16 v5, v16, v17
	v_sub_f16_e32 v24, v37, v19
	v_add_f16_e32 v19, v35, v30
	ds_write2_b32 v1, v4, v5 offset1:16
	v_pack_b32_f16 v4, v8, v13
	v_pack_b32_f16 v5, v22, v11
	v_sub_f16_e32 v33, v29, v34
	ds_write2_b32 v1, v4, v5 offset0:32 offset1:48
	v_pack_b32_f16 v4, v19, v9
	v_pack_b32_f16 v5, v7, v18
	v_sub_f16_e32 v26, v35, v30
	v_sub_f16_e32 v12, v36, v32
	ds_write2_b32 v1, v4, v5 offset0:64 offset1:80
	v_pack_b32_f16 v4, v6, v21
	v_pack_b32_f16 v5, v10, v33
	ds_write2_b32 v1, v4, v5 offset0:96 offset1:112
	v_pack_b32_f16 v4, v12, v24
	v_pack_b32_f16 v5, v26, v20
	ds_write2_b32 v1, v4, v5 offset0:128 offset1:144
.LBB0_17:
	s_or_b64 exec, exec, s[4:5]
	v_mul_u32_u24_e32 v1, 5, v0
	v_lshlrev_b32_e32 v1, 2, v1
	s_waitcnt lgkmcnt(0)
	s_barrier
	global_load_dwordx4 v[6:9], v1, s[8:9] offset:576
	global_load_dword v17, v1, s[8:9] offset:592
	v_add_u32_e32 v5, 0x400, v14
	ds_read2_b32 v[10:11], v14 offset1:160
	v_add_u32_e32 v4, 0xa00, v14
	ds_read2_b32 v[12:13], v5 offset0:64 offset1:224
	ds_read2_b32 v[15:16], v4 offset1:160
	s_movk_i32 s1, 0x3aee
	s_mov_b32 s0, 0xbaee
	s_waitcnt lgkmcnt(2)
	v_lshrrev_b32_e32 v18, 16, v11
	s_waitcnt lgkmcnt(1)
	v_lshrrev_b32_e32 v20, 16, v13
	;; [unrolled: 2-line block ×3, first 2 shown]
	v_lshrrev_b32_e32 v19, 16, v12
	v_lshrrev_b32_e32 v21, 16, v15
	;; [unrolled: 1-line block ×3, first 2 shown]
	s_waitcnt vmcnt(0)
	s_barrier
	v_mul_f16_sdwa v23, v6, v18 dst_sel:DWORD dst_unused:UNUSED_PAD src0_sel:WORD_1 src1_sel:DWORD
	v_mul_f16_sdwa v24, v6, v11 dst_sel:DWORD dst_unused:UNUSED_PAD src0_sel:WORD_1 src1_sel:DWORD
	;; [unrolled: 1-line block ×10, first 2 shown]
	v_fma_f16 v11, v6, v11, v23
	v_fma_f16 v6, v6, v18, -v24
	v_fma_f16 v13, v8, v13, v27
	v_fma_f16 v8, v8, v20, -v28
	;; [unrolled: 2-line block ×5, first 2 shown]
	v_sub_f16_e32 v24, v8, v17
	v_add_f16_e32 v25, v6, v8
	v_add_f16_e32 v8, v8, v17
	;; [unrolled: 1-line block ×3, first 2 shown]
	v_sub_f16_e32 v20, v7, v9
	v_add_f16_e32 v21, v1, v7
	v_add_f16_e32 v7, v7, v9
	;; [unrolled: 1-line block ×4, first 2 shown]
	v_sub_f16_e32 v13, v13, v16
	v_fma_f16 v6, v8, -0.5, v6
	v_add_f16_e32 v19, v12, v15
	v_sub_f16_e32 v12, v12, v15
	v_add_f16_e32 v15, v18, v15
	v_fma_f16 v1, v7, -0.5, v1
	v_add_f16_e32 v7, v22, v16
	v_fma_f16 v11, v23, -0.5, v11
	v_fma_f16 v18, v13, s1, v6
	v_fma_f16 v10, v19, -0.5, v10
	v_add_f16_e32 v9, v21, v9
	v_add_f16_e32 v16, v25, v17
	v_fma_f16 v17, v12, s1, v1
	v_fma_f16 v1, v12, s0, v1
	;; [unrolled: 1-line block ×4, first 2 shown]
	v_add_f16_e32 v13, v15, v7
	v_sub_f16_e32 v7, v15, v7
	v_mul_f16_e32 v15, 0xbaee, v18
	v_mul_f16_e32 v18, 0.5, v18
	v_fma_f16 v8, v20, s0, v10
	v_fma_f16 v11, v24, s1, v11
	v_add_f16_e32 v19, v9, v16
	v_sub_f16_e32 v9, v9, v16
	v_mul_f16_e32 v16, 0xbaee, v6
	v_mul_f16_e32 v6, -0.5, v6
	v_fma_f16 v15, v12, 0.5, v15
	v_fma_f16 v12, v12, s1, v18
	v_fma_f16 v10, v20, s1, v10
	v_fma_f16 v16, v11, -0.5, v16
	v_fma_f16 v6, v11, s1, v6
	v_add_f16_e32 v11, v8, v15
	v_add_f16_e32 v20, v17, v12
	;; [unrolled: 1-line block ×4, first 2 shown]
	v_sub_f16_e32 v1, v1, v6
	v_pack_b32_f16 v6, v13, v19
	v_pack_b32_f16 v11, v11, v20
	v_sub_f16_e32 v8, v8, v15
	v_sub_f16_e32 v10, v10, v16
	;; [unrolled: 1-line block ×3, first 2 shown]
	ds_write2_b32 v14, v6, v11 offset1:160
	v_pack_b32_f16 v6, v18, v21
	v_pack_b32_f16 v7, v7, v9
	ds_write2_b32 v5, v6, v7 offset0:64 offset1:224
	v_pack_b32_f16 v6, v8, v12
	v_pack_b32_f16 v1, v10, v1
	ds_write2_b32 v4, v6, v1 offset1:160
	s_waitcnt lgkmcnt(0)
	s_barrier
	s_and_saveexec_b64 s[0:1], vcc
	s_cbranch_execz .LBB0_19
; %bb.18:
	v_mov_b32_e32 v1, 0
	ds_read2_b32 v[6:7], v14 offset1:160
	v_mov_b32_e32 v8, s3
	v_add_co_u32_e32 v9, vcc, s2, v2
	v_lshlrev_b64 v[0:1], 2, v[0:1]
	v_addc_co_u32_e32 v8, vcc, v8, v3, vcc
	ds_read2_b32 v[2:3], v5 offset0:64 offset1:224
	v_add_co_u32_e32 v0, vcc, v9, v0
	v_addc_co_u32_e32 v1, vcc, v8, v1, vcc
	ds_read2_b32 v[4:5], v4 offset1:160
	s_waitcnt lgkmcnt(2)
	global_store_dword v[0:1], v6, off
	global_store_dword v[0:1], v7, off offset:640
	s_waitcnt lgkmcnt(1)
	global_store_dword v[0:1], v2, off offset:1280
	global_store_dword v[0:1], v3, off offset:1920
	s_waitcnt lgkmcnt(0)
	global_store_dword v[0:1], v4, off offset:2560
	global_store_dword v[0:1], v5, off offset:3200
.LBB0_19:
	s_endpgm
	.section	.rodata,"a",@progbits
	.p2align	6, 0x0
	.amdhsa_kernel fft_rtc_back_len960_factors_16_10_6_wgs_160_tpt_160_half_ip_CI_unitstride_sbrr_dirReg
		.amdhsa_group_segment_fixed_size 0
		.amdhsa_private_segment_fixed_size 0
		.amdhsa_kernarg_size 88
		.amdhsa_user_sgpr_count 6
		.amdhsa_user_sgpr_private_segment_buffer 1
		.amdhsa_user_sgpr_dispatch_ptr 0
		.amdhsa_user_sgpr_queue_ptr 0
		.amdhsa_user_sgpr_kernarg_segment_ptr 1
		.amdhsa_user_sgpr_dispatch_id 0
		.amdhsa_user_sgpr_flat_scratch_init 0
		.amdhsa_user_sgpr_private_segment_size 0
		.amdhsa_uses_dynamic_stack 0
		.amdhsa_system_sgpr_private_segment_wavefront_offset 0
		.amdhsa_system_sgpr_workgroup_id_x 1
		.amdhsa_system_sgpr_workgroup_id_y 0
		.amdhsa_system_sgpr_workgroup_id_z 0
		.amdhsa_system_sgpr_workgroup_info 0
		.amdhsa_system_vgpr_workitem_id 0
		.amdhsa_next_free_vgpr 46
		.amdhsa_next_free_sgpr 22
		.amdhsa_reserve_vcc 1
		.amdhsa_reserve_flat_scratch 0
		.amdhsa_float_round_mode_32 0
		.amdhsa_float_round_mode_16_64 0
		.amdhsa_float_denorm_mode_32 3
		.amdhsa_float_denorm_mode_16_64 3
		.amdhsa_dx10_clamp 1
		.amdhsa_ieee_mode 1
		.amdhsa_fp16_overflow 0
		.amdhsa_exception_fp_ieee_invalid_op 0
		.amdhsa_exception_fp_denorm_src 0
		.amdhsa_exception_fp_ieee_div_zero 0
		.amdhsa_exception_fp_ieee_overflow 0
		.amdhsa_exception_fp_ieee_underflow 0
		.amdhsa_exception_fp_ieee_inexact 0
		.amdhsa_exception_int_div_zero 0
	.end_amdhsa_kernel
	.text
.Lfunc_end0:
	.size	fft_rtc_back_len960_factors_16_10_6_wgs_160_tpt_160_half_ip_CI_unitstride_sbrr_dirReg, .Lfunc_end0-fft_rtc_back_len960_factors_16_10_6_wgs_160_tpt_160_half_ip_CI_unitstride_sbrr_dirReg
                                        ; -- End function
	.section	.AMDGPU.csdata,"",@progbits
; Kernel info:
; codeLenInByte = 4948
; NumSgprs: 26
; NumVgprs: 46
; ScratchSize: 0
; MemoryBound: 0
; FloatMode: 240
; IeeeMode: 1
; LDSByteSize: 0 bytes/workgroup (compile time only)
; SGPRBlocks: 3
; VGPRBlocks: 11
; NumSGPRsForWavesPerEU: 26
; NumVGPRsForWavesPerEU: 46
; Occupancy: 5
; WaveLimiterHint : 1
; COMPUTE_PGM_RSRC2:SCRATCH_EN: 0
; COMPUTE_PGM_RSRC2:USER_SGPR: 6
; COMPUTE_PGM_RSRC2:TRAP_HANDLER: 0
; COMPUTE_PGM_RSRC2:TGID_X_EN: 1
; COMPUTE_PGM_RSRC2:TGID_Y_EN: 0
; COMPUTE_PGM_RSRC2:TGID_Z_EN: 0
; COMPUTE_PGM_RSRC2:TIDIG_COMP_CNT: 0
	.type	__hip_cuid_a50d01d348c88ac2,@object ; @__hip_cuid_a50d01d348c88ac2
	.section	.bss,"aw",@nobits
	.globl	__hip_cuid_a50d01d348c88ac2
__hip_cuid_a50d01d348c88ac2:
	.byte	0                               ; 0x0
	.size	__hip_cuid_a50d01d348c88ac2, 1

	.ident	"AMD clang version 19.0.0git (https://github.com/RadeonOpenCompute/llvm-project roc-6.4.0 25133 c7fe45cf4b819c5991fe208aaa96edf142730f1d)"
	.section	".note.GNU-stack","",@progbits
	.addrsig
	.addrsig_sym __hip_cuid_a50d01d348c88ac2
	.amdgpu_metadata
---
amdhsa.kernels:
  - .args:
      - .actual_access:  read_only
        .address_space:  global
        .offset:         0
        .size:           8
        .value_kind:     global_buffer
      - .offset:         8
        .size:           8
        .value_kind:     by_value
      - .actual_access:  read_only
        .address_space:  global
        .offset:         16
        .size:           8
        .value_kind:     global_buffer
      - .actual_access:  read_only
        .address_space:  global
        .offset:         24
        .size:           8
        .value_kind:     global_buffer
      - .offset:         32
        .size:           8
        .value_kind:     by_value
      - .actual_access:  read_only
        .address_space:  global
        .offset:         40
        .size:           8
        .value_kind:     global_buffer
      - .actual_access:  read_only
        .address_space:  global
        .offset:         48
        .size:           8
        .value_kind:     global_buffer
      - .offset:         56
        .size:           4
        .value_kind:     by_value
      - .actual_access:  read_only
        .address_space:  global
        .offset:         64
        .size:           8
        .value_kind:     global_buffer
      - .actual_access:  read_only
        .address_space:  global
        .offset:         72
        .size:           8
        .value_kind:     global_buffer
      - .address_space:  global
        .offset:         80
        .size:           8
        .value_kind:     global_buffer
    .group_segment_fixed_size: 0
    .kernarg_segment_align: 8
    .kernarg_segment_size: 88
    .language:       OpenCL C
    .language_version:
      - 2
      - 0
    .max_flat_workgroup_size: 160
    .name:           fft_rtc_back_len960_factors_16_10_6_wgs_160_tpt_160_half_ip_CI_unitstride_sbrr_dirReg
    .private_segment_fixed_size: 0
    .sgpr_count:     26
    .sgpr_spill_count: 0
    .symbol:         fft_rtc_back_len960_factors_16_10_6_wgs_160_tpt_160_half_ip_CI_unitstride_sbrr_dirReg.kd
    .uniform_work_group_size: 1
    .uses_dynamic_stack: false
    .vgpr_count:     46
    .vgpr_spill_count: 0
    .wavefront_size: 64
amdhsa.target:   amdgcn-amd-amdhsa--gfx906
amdhsa.version:
  - 1
  - 2
...

	.end_amdgpu_metadata
